;; amdgpu-corpus repo=ROCm/rocFFT kind=compiled arch=gfx1030 opt=O3
	.text
	.amdgcn_target "amdgcn-amd-amdhsa--gfx1030"
	.amdhsa_code_object_version 6
	.protected	fft_rtc_back_len1764_factors_2_2_3_3_7_7_wgs_126_tpt_126_halfLds_dp_op_CI_CI_unitstride_sbrr_C2R_dirReg ; -- Begin function fft_rtc_back_len1764_factors_2_2_3_3_7_7_wgs_126_tpt_126_halfLds_dp_op_CI_CI_unitstride_sbrr_C2R_dirReg
	.globl	fft_rtc_back_len1764_factors_2_2_3_3_7_7_wgs_126_tpt_126_halfLds_dp_op_CI_CI_unitstride_sbrr_C2R_dirReg
	.p2align	8
	.type	fft_rtc_back_len1764_factors_2_2_3_3_7_7_wgs_126_tpt_126_halfLds_dp_op_CI_CI_unitstride_sbrr_C2R_dirReg,@function
fft_rtc_back_len1764_factors_2_2_3_3_7_7_wgs_126_tpt_126_halfLds_dp_op_CI_CI_unitstride_sbrr_C2R_dirReg: ; @fft_rtc_back_len1764_factors_2_2_3_3_7_7_wgs_126_tpt_126_halfLds_dp_op_CI_CI_unitstride_sbrr_C2R_dirReg
; %bb.0:
	s_clause 0x2
	s_load_dwordx4 s[12:15], s[4:5], 0x0
	s_load_dwordx4 s[8:11], s[4:5], 0x58
	;; [unrolled: 1-line block ×3, first 2 shown]
	v_mul_u32_u24_e32 v1, 0x209, v0
	v_mov_b32_e32 v3, 0
	v_add_nc_u32_sdwa v5, s6, v1 dst_sel:DWORD dst_unused:UNUSED_PAD src0_sel:DWORD src1_sel:WORD_1
	v_mov_b32_e32 v1, 0
	v_mov_b32_e32 v6, v3
	v_mov_b32_e32 v2, 0
	s_waitcnt lgkmcnt(0)
	v_cmp_lt_u64_e64 s0, s[14:15], 2
	s_and_b32 vcc_lo, exec_lo, s0
	s_cbranch_vccnz .LBB0_8
; %bb.1:
	s_load_dwordx2 s[0:1], s[4:5], 0x10
	v_mov_b32_e32 v1, 0
	v_mov_b32_e32 v2, 0
	s_add_u32 s2, s18, 8
	s_addc_u32 s3, s19, 0
	s_add_u32 s6, s16, 8
	s_addc_u32 s7, s17, 0
	v_mov_b32_e32 v105, v2
	v_mov_b32_e32 v104, v1
	s_mov_b64 s[22:23], 1
	s_waitcnt lgkmcnt(0)
	s_add_u32 s20, s0, 8
	s_addc_u32 s21, s1, 0
.LBB0_2:                                ; =>This Inner Loop Header: Depth=1
	s_load_dwordx2 s[24:25], s[20:21], 0x0
                                        ; implicit-def: $vgpr108_vgpr109
	s_mov_b32 s0, exec_lo
	s_waitcnt lgkmcnt(0)
	v_or_b32_e32 v4, s25, v6
	v_cmpx_ne_u64_e32 0, v[3:4]
	s_xor_b32 s1, exec_lo, s0
	s_cbranch_execz .LBB0_4
; %bb.3:                                ;   in Loop: Header=BB0_2 Depth=1
	v_cvt_f32_u32_e32 v4, s24
	v_cvt_f32_u32_e32 v7, s25
	s_sub_u32 s0, 0, s24
	s_subb_u32 s26, 0, s25
	v_fmac_f32_e32 v4, 0x4f800000, v7
	v_rcp_f32_e32 v4, v4
	v_mul_f32_e32 v4, 0x5f7ffffc, v4
	v_mul_f32_e32 v7, 0x2f800000, v4
	v_trunc_f32_e32 v7, v7
	v_fmac_f32_e32 v4, 0xcf800000, v7
	v_cvt_u32_f32_e32 v7, v7
	v_cvt_u32_f32_e32 v4, v4
	v_mul_lo_u32 v8, s0, v7
	v_mul_hi_u32 v9, s0, v4
	v_mul_lo_u32 v10, s26, v4
	v_add_nc_u32_e32 v8, v9, v8
	v_mul_lo_u32 v9, s0, v4
	v_add_nc_u32_e32 v8, v8, v10
	v_mul_hi_u32 v10, v4, v9
	v_mul_lo_u32 v11, v4, v8
	v_mul_hi_u32 v12, v4, v8
	v_mul_hi_u32 v13, v7, v9
	v_mul_lo_u32 v9, v7, v9
	v_mul_hi_u32 v14, v7, v8
	v_mul_lo_u32 v8, v7, v8
	v_add_co_u32 v10, vcc_lo, v10, v11
	v_add_co_ci_u32_e32 v11, vcc_lo, 0, v12, vcc_lo
	v_add_co_u32 v9, vcc_lo, v10, v9
	v_add_co_ci_u32_e32 v9, vcc_lo, v11, v13, vcc_lo
	v_add_co_ci_u32_e32 v10, vcc_lo, 0, v14, vcc_lo
	v_add_co_u32 v8, vcc_lo, v9, v8
	v_add_co_ci_u32_e32 v9, vcc_lo, 0, v10, vcc_lo
	v_add_co_u32 v4, vcc_lo, v4, v8
	v_add_co_ci_u32_e32 v7, vcc_lo, v7, v9, vcc_lo
	v_mul_hi_u32 v8, s0, v4
	v_mul_lo_u32 v10, s26, v4
	v_mul_lo_u32 v9, s0, v7
	v_add_nc_u32_e32 v8, v8, v9
	v_mul_lo_u32 v9, s0, v4
	v_add_nc_u32_e32 v8, v8, v10
	v_mul_hi_u32 v10, v4, v9
	v_mul_lo_u32 v11, v4, v8
	v_mul_hi_u32 v12, v4, v8
	v_mul_hi_u32 v13, v7, v9
	v_mul_lo_u32 v9, v7, v9
	v_mul_hi_u32 v14, v7, v8
	v_mul_lo_u32 v8, v7, v8
	v_add_co_u32 v10, vcc_lo, v10, v11
	v_add_co_ci_u32_e32 v11, vcc_lo, 0, v12, vcc_lo
	v_add_co_u32 v9, vcc_lo, v10, v9
	v_add_co_ci_u32_e32 v9, vcc_lo, v11, v13, vcc_lo
	v_add_co_ci_u32_e32 v10, vcc_lo, 0, v14, vcc_lo
	v_add_co_u32 v8, vcc_lo, v9, v8
	v_add_co_ci_u32_e32 v9, vcc_lo, 0, v10, vcc_lo
	v_add_co_u32 v4, vcc_lo, v4, v8
	v_add_co_ci_u32_e32 v11, vcc_lo, v7, v9, vcc_lo
	v_mul_hi_u32 v13, v5, v4
	v_mad_u64_u32 v[9:10], null, v6, v4, 0
	v_mad_u64_u32 v[7:8], null, v5, v11, 0
	;; [unrolled: 1-line block ×3, first 2 shown]
	v_add_co_u32 v4, vcc_lo, v13, v7
	v_add_co_ci_u32_e32 v7, vcc_lo, 0, v8, vcc_lo
	v_add_co_u32 v4, vcc_lo, v4, v9
	v_add_co_ci_u32_e32 v4, vcc_lo, v7, v10, vcc_lo
	v_add_co_ci_u32_e32 v7, vcc_lo, 0, v12, vcc_lo
	v_add_co_u32 v4, vcc_lo, v4, v11
	v_add_co_ci_u32_e32 v9, vcc_lo, 0, v7, vcc_lo
	v_mul_lo_u32 v10, s25, v4
	v_mad_u64_u32 v[7:8], null, s24, v4, 0
	v_mul_lo_u32 v11, s24, v9
	v_sub_co_u32 v7, vcc_lo, v5, v7
	v_add3_u32 v8, v8, v11, v10
	v_sub_nc_u32_e32 v10, v6, v8
	v_subrev_co_ci_u32_e64 v10, s0, s25, v10, vcc_lo
	v_add_co_u32 v11, s0, v4, 2
	v_add_co_ci_u32_e64 v12, s0, 0, v9, s0
	v_sub_co_u32 v13, s0, v7, s24
	v_sub_co_ci_u32_e32 v8, vcc_lo, v6, v8, vcc_lo
	v_subrev_co_ci_u32_e64 v10, s0, 0, v10, s0
	v_cmp_le_u32_e32 vcc_lo, s24, v13
	v_cmp_eq_u32_e64 s0, s25, v8
	v_cndmask_b32_e64 v13, 0, -1, vcc_lo
	v_cmp_le_u32_e32 vcc_lo, s25, v10
	v_cndmask_b32_e64 v14, 0, -1, vcc_lo
	v_cmp_le_u32_e32 vcc_lo, s24, v7
	;; [unrolled: 2-line block ×3, first 2 shown]
	v_cndmask_b32_e64 v15, 0, -1, vcc_lo
	v_cmp_eq_u32_e32 vcc_lo, s25, v10
	v_cndmask_b32_e64 v7, v15, v7, s0
	v_cndmask_b32_e32 v10, v14, v13, vcc_lo
	v_add_co_u32 v13, vcc_lo, v4, 1
	v_add_co_ci_u32_e32 v14, vcc_lo, 0, v9, vcc_lo
	v_cmp_ne_u32_e32 vcc_lo, 0, v10
	v_cndmask_b32_e32 v8, v14, v12, vcc_lo
	v_cndmask_b32_e32 v10, v13, v11, vcc_lo
	v_cmp_ne_u32_e32 vcc_lo, 0, v7
	v_cndmask_b32_e32 v109, v9, v8, vcc_lo
	v_cndmask_b32_e32 v108, v4, v10, vcc_lo
.LBB0_4:                                ;   in Loop: Header=BB0_2 Depth=1
	s_andn2_saveexec_b32 s0, s1
	s_cbranch_execz .LBB0_6
; %bb.5:                                ;   in Loop: Header=BB0_2 Depth=1
	v_cvt_f32_u32_e32 v4, s24
	s_sub_i32 s1, 0, s24
	v_mov_b32_e32 v109, v3
	v_rcp_iflag_f32_e32 v4, v4
	v_mul_f32_e32 v4, 0x4f7ffffe, v4
	v_cvt_u32_f32_e32 v4, v4
	v_mul_lo_u32 v7, s1, v4
	v_mul_hi_u32 v7, v4, v7
	v_add_nc_u32_e32 v4, v4, v7
	v_mul_hi_u32 v4, v5, v4
	v_mul_lo_u32 v7, v4, s24
	v_add_nc_u32_e32 v8, 1, v4
	v_sub_nc_u32_e32 v7, v5, v7
	v_subrev_nc_u32_e32 v9, s24, v7
	v_cmp_le_u32_e32 vcc_lo, s24, v7
	v_cndmask_b32_e32 v7, v7, v9, vcc_lo
	v_cndmask_b32_e32 v4, v4, v8, vcc_lo
	v_cmp_le_u32_e32 vcc_lo, s24, v7
	v_add_nc_u32_e32 v8, 1, v4
	v_cndmask_b32_e32 v108, v4, v8, vcc_lo
.LBB0_6:                                ;   in Loop: Header=BB0_2 Depth=1
	s_or_b32 exec_lo, exec_lo, s0
	v_mul_lo_u32 v4, v109, s24
	v_mul_lo_u32 v9, v108, s25
	s_load_dwordx2 s[0:1], s[6:7], 0x0
	v_mad_u64_u32 v[7:8], null, v108, s24, 0
	s_load_dwordx2 s[24:25], s[2:3], 0x0
	s_add_u32 s22, s22, 1
	s_addc_u32 s23, s23, 0
	s_add_u32 s2, s2, 8
	s_addc_u32 s3, s3, 0
	s_add_u32 s6, s6, 8
	v_add3_u32 v4, v8, v9, v4
	v_sub_co_u32 v5, vcc_lo, v5, v7
	s_addc_u32 s7, s7, 0
	s_add_u32 s20, s20, 8
	v_sub_co_ci_u32_e32 v4, vcc_lo, v6, v4, vcc_lo
	s_addc_u32 s21, s21, 0
	s_waitcnt lgkmcnt(0)
	v_mul_lo_u32 v6, s0, v4
	v_mul_lo_u32 v7, s1, v5
	v_mad_u64_u32 v[1:2], null, s0, v5, v[1:2]
	v_mul_lo_u32 v4, s24, v4
	v_mul_lo_u32 v8, s25, v5
	v_mad_u64_u32 v[104:105], null, s24, v5, v[104:105]
	v_cmp_ge_u64_e64 s0, s[22:23], s[14:15]
	v_add3_u32 v2, v7, v2, v6
	v_add3_u32 v105, v8, v105, v4
	s_and_b32 vcc_lo, exec_lo, s0
	s_cbranch_vccnz .LBB0_9
; %bb.7:                                ;   in Loop: Header=BB0_2 Depth=1
	v_mov_b32_e32 v5, v108
	v_mov_b32_e32 v6, v109
	s_branch .LBB0_2
.LBB0_8:
	v_mov_b32_e32 v105, v2
	v_mov_b32_e32 v109, v6
	;; [unrolled: 1-line block ×4, first 2 shown]
.LBB0_9:
	s_load_dwordx2 s[0:1], s[4:5], 0x28
	v_mul_hi_u32 v3, 0x2082083, v0
	s_lshl_b64 s[4:5], s[14:15], 3
                                        ; implicit-def: $vgpr106
	s_add_u32 s2, s18, s4
	s_addc_u32 s3, s19, s5
	s_waitcnt lgkmcnt(0)
	v_cmp_gt_u64_e32 vcc_lo, s[0:1], v[108:109]
	v_cmp_le_u64_e64 s0, s[0:1], v[108:109]
	s_and_saveexec_b32 s1, s0
	s_xor_b32 s0, exec_lo, s1
; %bb.10:
	v_mul_u32_u24_e32 v1, 0x7e, v3
                                        ; implicit-def: $vgpr3
	v_sub_nc_u32_e32 v106, v0, v1
                                        ; implicit-def: $vgpr0
                                        ; implicit-def: $vgpr1_vgpr2
; %bb.11:
	s_or_saveexec_b32 s1, s0
	s_load_dwordx2 s[2:3], s[2:3], 0x0
	s_xor_b32 exec_lo, exec_lo, s1
	s_cbranch_execz .LBB0_15
; %bb.12:
	s_add_u32 s4, s16, s4
	s_addc_u32 s5, s17, s5
	v_lshlrev_b64 v[1:2], 4, v[1:2]
	s_load_dwordx2 s[4:5], s[4:5], 0x0
	s_waitcnt lgkmcnt(0)
	v_mul_lo_u32 v6, s5, v108
	v_mul_lo_u32 v7, s4, v109
	v_mad_u64_u32 v[4:5], null, s4, v108, 0
	s_mov_b32 s4, exec_lo
	v_add3_u32 v5, v5, v7, v6
	v_mul_u32_u24_e32 v6, 0x7e, v3
	v_lshlrev_b64 v[3:4], 4, v[4:5]
	v_sub_nc_u32_e32 v106, v0, v6
	v_lshlrev_b32_e32 v58, 4, v106
	v_add_co_u32 v0, s0, s8, v3
	v_add_co_ci_u32_e64 v3, s0, s9, v4, s0
	v_add_co_u32 v0, s0, v0, v1
	v_add_co_ci_u32_e64 v1, s0, v3, v2, s0
	;; [unrolled: 2-line block ×3, first 2 shown]
	s_clause 0x1
	global_load_dwordx4 v[2:5], v[10:11], off
	global_load_dwordx4 v[6:9], v[10:11], off offset:2016
	v_add_co_u32 v12, s0, 0x800, v10
	v_add_co_ci_u32_e64 v13, s0, 0, v11, s0
	v_add_co_u32 v14, s0, 0x1000, v10
	v_add_co_ci_u32_e64 v15, s0, 0, v11, s0
	;; [unrolled: 2-line block ×12, first 2 shown]
	s_clause 0xb
	global_load_dwordx4 v[10:13], v[12:13], off offset:1984
	global_load_dwordx4 v[14:17], v[14:15], off offset:1952
	;; [unrolled: 1-line block ×12, first 2 shown]
	v_add_nc_u32_e32 v58, 0, v58
	s_waitcnt vmcnt(13)
	ds_write_b128 v58, v[2:5]
	s_waitcnt vmcnt(12)
	ds_write_b128 v58, v[6:9] offset:2016
	s_waitcnt vmcnt(11)
	ds_write_b128 v58, v[10:13] offset:4032
	s_waitcnt vmcnt(10)
	ds_write_b128 v58, v[14:17] offset:6048
	s_waitcnt vmcnt(9)
	ds_write_b128 v58, v[18:21] offset:8064
	s_waitcnt vmcnt(8)
	ds_write_b128 v58, v[22:25] offset:10080
	s_waitcnt vmcnt(7)
	ds_write_b128 v58, v[26:29] offset:12096
	s_waitcnt vmcnt(6)
	ds_write_b128 v58, v[30:33] offset:14112
	s_waitcnt vmcnt(5)
	ds_write_b128 v58, v[34:37] offset:16128
	s_waitcnt vmcnt(4)
	ds_write_b128 v58, v[38:41] offset:18144
	s_waitcnt vmcnt(3)
	ds_write_b128 v58, v[42:45] offset:20160
	s_waitcnt vmcnt(2)
	ds_write_b128 v58, v[46:49] offset:22176
	s_waitcnt vmcnt(1)
	ds_write_b128 v58, v[50:53] offset:24192
	s_waitcnt vmcnt(0)
	ds_write_b128 v58, v[54:57] offset:26208
	v_cmpx_eq_u32_e32 0x7d, v106
	s_cbranch_execz .LBB0_14
; %bb.13:
	v_add_co_u32 v0, s0, 0x6800, v0
	v_add_co_ci_u32_e64 v1, s0, 0, v1, s0
	v_mov_b32_e32 v4, 0
	v_mov_b32_e32 v106, 0x7d
	global_load_dwordx4 v[0:3], v[0:1], off offset:1600
	s_waitcnt vmcnt(0)
	ds_write_b128 v4, v[0:3] offset:28224
.LBB0_14:
	s_or_b32 exec_lo, exec_lo, s4
.LBB0_15:
	s_or_b32 exec_lo, exec_lo, s1
	v_lshlrev_b32_e32 v0, 4, v106
	s_waitcnt lgkmcnt(0)
	s_barrier
	buffer_gl0_inv
	s_add_u32 s1, s12, 0x6e20
	v_add_nc_u32_e32 v110, 0, v0
	v_sub_nc_u32_e32 v10, 0, v0
	s_addc_u32 s4, s13, 0
	s_mov_b32 s5, exec_lo
                                        ; implicit-def: $vgpr4_vgpr5
	ds_read_b64 v[6:7], v110
	ds_read_b64 v[8:9], v10 offset:28224
	s_waitcnt lgkmcnt(0)
	v_add_f64 v[0:1], v[6:7], v[8:9]
	v_add_f64 v[2:3], v[6:7], -v[8:9]
	v_cmpx_ne_u32_e32 0, v106
	s_xor_b32 s5, exec_lo, s5
	s_cbranch_execz .LBB0_17
; %bb.16:
	v_mov_b32_e32 v107, 0
	v_add_f64 v[13:14], v[6:7], v[8:9]
	v_add_f64 v[15:16], v[6:7], -v[8:9]
	v_lshlrev_b64 v[0:1], 4, v[106:107]
	v_add_co_u32 v0, s0, s1, v0
	v_add_co_ci_u32_e64 v1, s0, s4, v1, s0
	global_load_dwordx4 v[2:5], v[0:1], off
	ds_read_b64 v[0:1], v10 offset:28232
	ds_read_b64 v[11:12], v110 offset:8
	s_waitcnt lgkmcnt(0)
	v_add_f64 v[6:7], v[0:1], v[11:12]
	v_add_f64 v[0:1], v[11:12], -v[0:1]
	s_waitcnt vmcnt(0)
	v_fma_f64 v[8:9], v[15:16], v[4:5], v[13:14]
	v_fma_f64 v[11:12], -v[15:16], v[4:5], v[13:14]
	v_fma_f64 v[13:14], v[6:7], v[4:5], -v[0:1]
	v_fma_f64 v[4:5], v[6:7], v[4:5], v[0:1]
	v_fma_f64 v[0:1], -v[6:7], v[2:3], v[8:9]
	v_fma_f64 v[6:7], v[6:7], v[2:3], v[11:12]
	v_fma_f64 v[8:9], v[15:16], v[2:3], v[13:14]
	;; [unrolled: 1-line block ×3, first 2 shown]
	v_mov_b32_e32 v4, v106
	v_mov_b32_e32 v5, v107
	ds_write_b128 v10, v[6:9] offset:28224
.LBB0_17:
	s_andn2_saveexec_b32 s0, s5
	s_cbranch_execz .LBB0_19
; %bb.18:
	v_mov_b32_e32 v8, 0
	ds_read_b128 v[4:7], v8 offset:14112
	s_waitcnt lgkmcnt(0)
	v_add_f64 v[11:12], v[4:5], v[4:5]
	v_mul_f64 v[13:14], v[6:7], -2.0
	v_mov_b32_e32 v4, 0
	v_mov_b32_e32 v5, 0
	ds_write_b128 v8, v[11:14] offset:14112
.LBB0_19:
	s_or_b32 exec_lo, exec_lo, s0
	v_lshlrev_b64 v[4:5], 4, v[4:5]
	ds_write_b128 v110, v[0:3]
	v_and_b32_e32 v92, 1, v106
	v_add_nc_u32_e32 v60, 0x7e, v106
	v_add_nc_u32_e32 v63, 0xfc, v106
	;; [unrolled: 1-line block ×3, first 2 shown]
	v_add_co_u32 v27, s0, s1, v4
	v_add_co_ci_u32_e64 v28, s0, s4, v5, s0
	v_add_nc_u32_e32 v61, 0x1f8, v106
	v_add_co_u32 v8, s0, 0x800, v27
	global_load_dwordx4 v[4:7], v[27:28], off offset:2016
	v_add_co_ci_u32_e64 v9, s0, 0, v28, s0
	v_lshl_add_u32 v64, v106, 4, v110
	v_lshlrev_b32_e32 v69, 4, v92
	v_lshl_add_u32 v65, v60, 5, 0
	global_load_dwordx4 v[11:14], v[8:9], off offset:1984
	v_add_co_u32 v8, s0, 0x1000, v27
	v_add_co_ci_u32_e64 v9, s0, 0, v28, s0
	v_lshl_add_u32 v66, v63, 5, 0
	v_lshlrev_b32_e32 v93, 1, v106
	global_load_dwordx4 v[15:18], v[8:9], off offset:1952
	v_add_co_u32 v8, s0, 0x1800, v27
	v_add_co_ci_u32_e64 v9, s0, 0, v28, s0
	ds_read_b128 v[0:3], v110 offset:2016
	ds_read_b128 v[19:22], v10 offset:26208
	global_load_dwordx4 v[23:26], v[8:9], off offset:1920
	s_waitcnt lgkmcnt(0)
	v_add_f64 v[8:9], v[0:1], v[19:20]
	v_add_f64 v[29:30], v[21:22], v[2:3]
	v_add_f64 v[19:20], v[0:1], -v[19:20]
	v_add_f64 v[0:1], v[2:3], -v[21:22]
	s_waitcnt vmcnt(3)
	v_fma_f64 v[2:3], v[19:20], v[6:7], v[8:9]
	v_fma_f64 v[21:22], v[29:30], v[6:7], v[0:1]
	v_fma_f64 v[8:9], -v[19:20], v[6:7], v[8:9]
	v_fma_f64 v[31:32], v[29:30], v[6:7], -v[0:1]
	v_fma_f64 v[0:1], -v[29:30], v[4:5], v[2:3]
	v_fma_f64 v[2:3], v[19:20], v[4:5], v[21:22]
	v_fma_f64 v[6:7], v[29:30], v[4:5], v[8:9]
	v_fma_f64 v[8:9], v[19:20], v[4:5], v[31:32]
	v_add_co_u32 v19, s0, 0x2000, v27
	v_add_co_ci_u32_e64 v20, s0, 0, v28, s0
	ds_write_b128 v110, v[0:3] offset:2016
	ds_write_b128 v10, v[6:9] offset:26208
	ds_read_b128 v[0:3], v110 offset:4032
	ds_read_b128 v[4:7], v10 offset:24192
	global_load_dwordx4 v[19:22], v[19:20], off offset:1888
	s_waitcnt lgkmcnt(0)
	v_add_f64 v[8:9], v[0:1], v[4:5]
	v_add_f64 v[29:30], v[6:7], v[2:3]
	v_add_f64 v[31:32], v[0:1], -v[4:5]
	v_add_f64 v[0:1], v[2:3], -v[6:7]
	s_waitcnt vmcnt(3)
	v_fma_f64 v[2:3], v[31:32], v[13:14], v[8:9]
	v_fma_f64 v[4:5], v[29:30], v[13:14], v[0:1]
	v_fma_f64 v[6:7], -v[31:32], v[13:14], v[8:9]
	v_fma_f64 v[8:9], v[29:30], v[13:14], -v[0:1]
	v_fma_f64 v[0:1], -v[29:30], v[11:12], v[2:3]
	v_fma_f64 v[2:3], v[31:32], v[11:12], v[4:5]
	v_fma_f64 v[4:5], v[29:30], v[11:12], v[6:7]
	v_fma_f64 v[6:7], v[31:32], v[11:12], v[8:9]
	v_add_co_u32 v8, s0, 0x2800, v27
	v_add_co_ci_u32_e64 v9, s0, 0, v28, s0
	v_cmp_gt_u32_e64 s0, 0x54, v106
	ds_write_b128 v110, v[0:3] offset:4032
	ds_write_b128 v10, v[4:7] offset:24192
	ds_read_b128 v[0:3], v110 offset:6048
	ds_read_b128 v[4:7], v10 offset:22176
	global_load_dwordx4 v[11:14], v[8:9], off offset:1856
	s_waitcnt lgkmcnt(0)
	v_add_f64 v[8:9], v[0:1], v[4:5]
	v_add_f64 v[27:28], v[6:7], v[2:3]
	v_add_f64 v[29:30], v[0:1], -v[4:5]
	v_add_f64 v[0:1], v[2:3], -v[6:7]
	s_waitcnt vmcnt(3)
	v_fma_f64 v[2:3], v[29:30], v[17:18], v[8:9]
	v_fma_f64 v[4:5], v[27:28], v[17:18], v[0:1]
	v_fma_f64 v[6:7], -v[29:30], v[17:18], v[8:9]
	v_fma_f64 v[8:9], v[27:28], v[17:18], -v[0:1]
	v_fma_f64 v[0:1], -v[27:28], v[15:16], v[2:3]
	v_fma_f64 v[2:3], v[29:30], v[15:16], v[4:5]
	v_fma_f64 v[4:5], v[27:28], v[15:16], v[6:7]
	v_fma_f64 v[6:7], v[29:30], v[15:16], v[8:9]
	ds_write_b128 v110, v[0:3] offset:6048
	ds_write_b128 v10, v[4:7] offset:22176
	ds_read_b128 v[0:3], v110 offset:8064
	ds_read_b128 v[4:7], v10 offset:20160
	s_waitcnt lgkmcnt(0)
	v_add_f64 v[8:9], v[0:1], v[4:5]
	v_add_f64 v[15:16], v[6:7], v[2:3]
	v_add_f64 v[17:18], v[0:1], -v[4:5]
	v_add_f64 v[0:1], v[2:3], -v[6:7]
	s_waitcnt vmcnt(2)
	v_fma_f64 v[2:3], v[17:18], v[25:26], v[8:9]
	v_fma_f64 v[4:5], v[15:16], v[25:26], v[0:1]
	v_fma_f64 v[6:7], -v[17:18], v[25:26], v[8:9]
	v_fma_f64 v[8:9], v[15:16], v[25:26], -v[0:1]
	v_fma_f64 v[0:1], -v[15:16], v[23:24], v[2:3]
	v_fma_f64 v[2:3], v[17:18], v[23:24], v[4:5]
	v_fma_f64 v[4:5], v[15:16], v[23:24], v[6:7]
	v_fma_f64 v[6:7], v[17:18], v[23:24], v[8:9]
	ds_write_b128 v110, v[0:3] offset:8064
	ds_write_b128 v10, v[4:7] offset:20160
	ds_read_b128 v[0:3], v110 offset:10080
	ds_read_b128 v[4:7], v10 offset:18144
	;; [unrolled: 18-line block ×3, first 2 shown]
	s_waitcnt lgkmcnt(0)
	v_add_f64 v[8:9], v[0:1], v[4:5]
	v_add_f64 v[15:16], v[6:7], v[2:3]
	v_add_f64 v[17:18], v[0:1], -v[4:5]
	v_add_f64 v[0:1], v[2:3], -v[6:7]
	s_waitcnt vmcnt(0)
	v_fma_f64 v[2:3], v[17:18], v[13:14], v[8:9]
	v_fma_f64 v[4:5], v[15:16], v[13:14], v[0:1]
	v_fma_f64 v[6:7], -v[17:18], v[13:14], v[8:9]
	v_fma_f64 v[8:9], v[15:16], v[13:14], -v[0:1]
	v_fma_f64 v[0:1], -v[15:16], v[11:12], v[2:3]
	v_fma_f64 v[2:3], v[17:18], v[11:12], v[4:5]
	v_fma_f64 v[4:5], v[15:16], v[11:12], v[6:7]
	;; [unrolled: 1-line block ×3, first 2 shown]
	ds_write_b128 v110, v[0:3] offset:12096
	ds_write_b128 v10, v[4:7] offset:16128
	s_waitcnt lgkmcnt(0)
	s_barrier
	buffer_gl0_inv
	s_barrier
	buffer_gl0_inv
	ds_read_b128 v[0:3], v110 offset:14112
	ds_read_b128 v[4:7], v110
	ds_read_b128 v[8:11], v110 offset:2016
	ds_read_b128 v[12:15], v110 offset:16128
	;; [unrolled: 1-line block ×12, first 2 shown]
	s_waitcnt lgkmcnt(0)
	s_barrier
	buffer_gl0_inv
	v_add_f64 v[56:57], v[4:5], -v[0:1]
	v_add_f64 v[58:59], v[6:7], -v[2:3]
	;; [unrolled: 1-line block ×14, first 2 shown]
	v_add_nc_u32_e32 v1, 0x276, v106
	v_add_nc_u32_e32 v0, 0x2f4, v106
	v_lshl_add_u32 v67, v1, 5, 0
	v_lshl_add_u32 v68, v0, 5, 0
	v_lshlrev_b32_e32 v1, 1, v1
	v_fma_f64 v[2:3], v[4:5], 2.0, -v[56:57]
	v_fma_f64 v[4:5], v[6:7], 2.0, -v[58:59]
	;; [unrolled: 1-line block ×14, first 2 shown]
	v_lshl_add_u32 v10, v62, 5, 0
	v_lshl_add_u32 v11, v61, 5, 0
	ds_write_b128 v64, v[56:59] offset:16
	ds_write_b128 v65, v[12:15] offset:16
	;; [unrolled: 1-line block ×7, first 2 shown]
	ds_write_b128 v64, v[2:5]
	ds_write_b128 v65, v[6:9]
	;; [unrolled: 1-line block ×7, first 2 shown]
	s_waitcnt lgkmcnt(0)
	s_barrier
	buffer_gl0_inv
	global_load_dwordx4 v[2:5], v69, s[12:13]
	ds_read_b128 v[6:9], v110 offset:14112
	ds_read_b128 v[10:13], v110 offset:16128
	;; [unrolled: 1-line block ×8, first 2 shown]
	ds_read_b128 v[38:41], v110
	ds_read_b128 v[42:45], v110 offset:2016
	ds_read_b128 v[46:49], v110 offset:4032
	;; [unrolled: 1-line block ×5, first 2 shown]
	v_lshlrev_b32_e32 v0, 1, v0
	s_waitcnt vmcnt(0) lgkmcnt(0)
	s_barrier
	buffer_gl0_inv
	v_mul_f64 v[58:59], v[8:9], v[4:5]
	v_mul_f64 v[68:69], v[6:7], v[4:5]
	;; [unrolled: 1-line block ×14, first 2 shown]
	v_fma_f64 v[6:7], v[6:7], v[2:3], v[58:59]
	v_fma_f64 v[8:9], v[8:9], v[2:3], -v[68:69]
	v_fma_f64 v[10:11], v[10:11], v[2:3], v[70:71]
	v_fma_f64 v[12:13], v[12:13], v[2:3], -v[72:73]
	;; [unrolled: 2-line block ×7, first 2 shown]
	v_lshlrev_b32_e32 v33, 1, v60
	v_lshlrev_b32_e32 v78, 1, v63
	;; [unrolled: 1-line block ×3, first 2 shown]
	v_and_or_b32 v32, 0xfc, v93, v92
	v_lshlrev_b32_e32 v80, 1, v61
	v_and_or_b32 v33, 0x1fc, v33, v92
	v_add_f64 v[4:5], v[38:39], -v[6:7]
	v_add_f64 v[6:7], v[40:41], -v[8:9]
	;; [unrolled: 1-line block ×14, first 2 shown]
	v_and_or_b32 v69, 0x5fc, v1, v92
	v_and_or_b32 v70, 0x7fc, v0, v92
	;; [unrolled: 1-line block ×4, first 2 shown]
	v_lshl_add_u32 v32, v32, 4, 0
	v_and_or_b32 v68, 0x7fc, v80, v92
	v_lshl_add_u32 v33, v33, 4, 0
	v_fma_f64 v[38:39], v[38:39], 2.0, -v[4:5]
	v_fma_f64 v[40:41], v[40:41], 2.0, -v[6:7]
	;; [unrolled: 1-line block ×14, first 2 shown]
	v_lshl_add_u32 v34, v58, 4, 0
	v_lshl_add_u32 v35, v59, 4, 0
	;; [unrolled: 1-line block ×5, first 2 shown]
	ds_write_b128 v32, v[4:7] offset:32
	ds_write_b128 v32, v[38:41]
	ds_write_b128 v33, v[42:45]
	ds_write_b128 v33, v[8:11] offset:32
	ds_write_b128 v34, v[46:49]
	ds_write_b128 v34, v[12:15] offset:32
	;; [unrolled: 2-line block ×6, first 2 shown]
	s_waitcnt lgkmcnt(0)
	s_barrier
	buffer_gl0_inv
	ds_read_b128 v[20:23], v110
	ds_read_b128 v[8:11], v110 offset:2016
	ds_read_b128 v[44:47], v110 offset:9408
	;; [unrolled: 1-line block ×11, first 2 shown]
                                        ; implicit-def: $vgpr38_vgpr39
	s_and_saveexec_b32 s1, s0
	s_cbranch_execz .LBB0_21
; %bb.20:
	ds_read_b128 v[0:3], v110 offset:8064
	ds_read_b128 v[16:19], v110 offset:17472
	;; [unrolled: 1-line block ×3, first 2 shown]
.LBB0_21:
	s_or_b32 exec_lo, exec_lo, s1
	v_and_b32_e32 v103, 3, v62
	v_and_b32_e32 v64, 3, v106
	;; [unrolled: 1-line block ×3, first 2 shown]
	s_mov_b32 s4, 0xe8584caa
	s_mov_b32 s5, 0xbfebb67a
	v_lshlrev_b32_e32 v87, 5, v103
	v_lshlrev_b32_e32 v77, 5, v64
	v_lshlrev_b32_e32 v78, 5, v107
	s_mov_b32 s7, 0x3febb67a
	s_mov_b32 s6, s4
	s_clause 0x6
	global_load_dwordx4 v[65:68], v87, s[12:13] offset:32
	global_load_dwordx4 v[73:76], v77, s[12:13] offset:32
	;; [unrolled: 1-line block ×3, first 2 shown]
	global_load_dwordx2 v[85:86], v78, s[12:13] offset:32
	global_load_dwordx4 v[77:80], v77, s[12:13] offset:48
	global_load_dwordx4 v[81:84], v87, s[12:13] offset:40
	global_load_dwordx2 v[87:88], v87, s[12:13] offset:56
	s_waitcnt vmcnt(0) lgkmcnt(0)
	s_barrier
	buffer_gl0_inv
	v_mul_f64 v[89:90], v[58:59], v[67:68]
	v_mul_f64 v[67:68], v[56:57], v[67:68]
	;; [unrolled: 1-line block ×8, first 2 shown]
	v_fma_f64 v[56:57], v[56:57], v[85:86], v[89:90]
	v_fma_f64 v[58:59], v[58:59], v[85:86], -v[67:68]
	v_mul_f64 v[67:68], v[42:43], v[79:80]
	v_mul_f64 v[85:86], v[40:41], v[79:80]
	;; [unrolled: 1-line block ×3, first 2 shown]
	v_fma_f64 v[52:53], v[52:53], v[83:84], v[91:92]
	v_fma_f64 v[54:55], v[54:55], v[83:84], -v[71:72]
	v_mul_f64 v[71:72], v[16:17], v[75:76]
	v_mul_f64 v[75:76], v[26:27], v[81:82]
	;; [unrolled: 1-line block ×4, first 2 shown]
	v_fma_f64 v[44:45], v[44:45], v[73:74], v[93:94]
	v_fma_f64 v[46:47], v[46:47], v[73:74], -v[95:96]
	v_mul_f64 v[91:92], v[34:35], v[79:80]
	v_mul_f64 v[93:94], v[32:33], v[79:80]
	;; [unrolled: 1-line block ×5, first 2 shown]
	v_fma_f64 v[48:49], v[48:49], v[73:74], v[97:98]
	v_fma_f64 v[50:51], v[50:51], v[73:74], -v[99:100]
	v_fma_f64 v[40:41], v[40:41], v[77:78], v[67:68]
	v_fma_f64 v[42:43], v[42:43], v[77:78], -v[85:86]
	v_fma_f64 v[16:17], v[16:17], v[73:74], v[89:90]
	v_lshrrev_b32_e32 v67, 2, v106
	v_lshrrev_b32_e32 v68, 2, v60
	v_fma_f64 v[18:19], v[18:19], v[73:74], -v[71:72]
	v_fma_f64 v[24:25], v[24:25], v[65:66], v[75:76]
	v_fma_f64 v[26:27], v[26:27], v[65:66], -v[81:82]
	v_fma_f64 v[28:29], v[28:29], v[69:70], v[83:84]
	v_lshrrev_b32_e32 v85, 2, v63
	v_lshrrev_b32_e32 v86, 2, v62
	v_fma_f64 v[32:33], v[32:33], v[77:78], v[91:92]
	v_fma_f64 v[34:35], v[34:35], v[77:78], -v[93:94]
	v_fma_f64 v[30:31], v[30:31], v[69:70], -v[87:88]
	v_fma_f64 v[36:37], v[36:37], v[77:78], v[95:96]
	v_fma_f64 v[38:39], v[38:39], v[77:78], -v[79:80]
	v_mul_u32_u24_e32 v67, 12, v67
	v_mul_u32_u24_e32 v121, 12, v68
	v_mul_u32_u24_e32 v122, 12, v85
	v_mul_u32_u24_e32 v123, 12, v86
	v_add_f64 v[65:66], v[20:21], v[44:45]
	v_or_b32_e32 v124, v67, v64
	v_add_f64 v[67:68], v[22:23], v[46:47]
	v_add_f64 v[73:74], v[8:9], v[56:57]
	;; [unrolled: 1-line block ×9, first 2 shown]
	v_add_f64 v[58:59], v[58:59], -v[54:55]
	v_add_f64 v[56:57], v[56:57], -v[52:53]
	v_add_f64 v[85:86], v[48:49], v[32:33]
	v_add_f64 v[89:90], v[48:49], -v[32:33]
	v_add_f64 v[48:49], v[24:25], v[28:29]
	v_add_f64 v[91:92], v[26:27], v[30:31]
	;; [unrolled: 1-line block ×4, first 2 shown]
	v_add_f64 v[87:88], v[50:51], -v[34:35]
	v_add_f64 v[50:51], v[50:51], v[34:35]
	v_add_f64 v[93:94], v[4:5], v[24:25]
	;; [unrolled: 1-line block ×5, first 2 shown]
	v_add_f64 v[113:114], v[26:27], -v[30:31]
	v_add_f64 v[115:116], v[24:25], -v[28:29]
	v_add_f64 v[117:118], v[18:19], -v[38:39]
	v_add_f64 v[119:120], v[16:17], -v[36:37]
	v_fma_f64 v[8:9], v[77:78], -0.5, v[8:9]
	v_add_f64 v[16:17], v[65:66], v[40:41]
	v_fma_f64 v[10:11], v[79:80], -0.5, v[10:11]
	v_add_f64 v[18:19], v[67:68], v[42:43]
	v_add_f64 v[46:47], v[46:47], -v[42:43]
	v_add_f64 v[44:45], v[44:45], -v[40:41]
	v_fma_f64 v[65:66], v[85:86], -0.5, v[12:13]
	v_add_f64 v[12:13], v[73:74], v[52:53]
	v_fma_f64 v[4:5], v[48:49], -0.5, v[4:5]
	v_fma_f64 v[6:7], v[91:92], -0.5, v[6:7]
	;; [unrolled: 1-line block ×7, first 2 shown]
	v_add_f64 v[14:15], v[75:76], v[54:55]
	v_add_f64 v[0:1], v[101:102], v[36:37]
	;; [unrolled: 1-line block ×7, first 2 shown]
	v_fma_f64 v[36:37], v[58:59], s[4:5], v[8:9]
	v_fma_f64 v[40:41], v[58:59], s[6:7], v[8:9]
	;; [unrolled: 1-line block ×20, first 2 shown]
	v_or_b32_e32 v65, v121, v107
	v_or_b32_e32 v66, v122, v64
	;; [unrolled: 1-line block ×3, first 2 shown]
	v_lshl_add_u32 v68, v124, 4, 0
	v_lshl_add_u32 v65, v65, 4, 0
	v_lshl_add_u32 v66, v66, 4, 0
	v_lshl_add_u32 v67, v67, 4, 0
	ds_write_b128 v68, v[16:19]
	ds_write_b128 v68, v[28:31] offset:64
	ds_write_b128 v68, v[32:35] offset:128
	ds_write_b128 v65, v[12:15]
	ds_write_b128 v65, v[36:39] offset:64
	ds_write_b128 v65, v[40:43] offset:128
	;; [unrolled: 3-line block ×4, first 2 shown]
	s_and_saveexec_b32 s1, s0
	s_cbranch_execz .LBB0_23
; %bb.22:
	v_lshrrev_b32_e32 v12, 2, v61
	v_mul_u32_u24_e32 v12, 12, v12
	v_or_b32_e32 v12, v12, v64
	v_lshl_add_u32 v12, v12, 4, 0
	ds_write_b128 v12, v[0:3]
	ds_write_b128 v12, v[4:7] offset:64
	ds_write_b128 v12, v[8:11] offset:128
.LBB0_23:
	s_or_b32 exec_lo, exec_lo, s1
	s_waitcnt lgkmcnt(0)
	s_barrier
	buffer_gl0_inv
	ds_read_b128 v[20:23], v110
	ds_read_b128 v[12:15], v110 offset:2016
	ds_read_b128 v[56:59], v110 offset:9408
	;; [unrolled: 1-line block ×11, first 2 shown]
	s_and_saveexec_b32 s1, s0
	s_cbranch_execz .LBB0_25
; %bb.24:
	ds_read_b128 v[0:3], v110 offset:8064
	ds_read_b128 v[4:7], v110 offset:17472
	;; [unrolled: 1-line block ×3, first 2 shown]
.LBB0_25:
	s_or_b32 exec_lo, exec_lo, s1
	v_and_b32_e32 v65, 0xff, v106
	v_mov_b32_e32 v67, 0xaaab
	v_mov_b32_e32 v66, 5
	s_mov_b32 s6, s4
	v_mov_b32_e32 v107, 4
	v_mul_lo_u16 v64, 0xab, v65
	v_lshrrev_b16 v121, 11, v64
	v_and_b32_e32 v64, 0xff, v60
	v_mul_lo_u16 v68, v121, 12
	v_mul_lo_u16 v69, 0xab, v64
	v_sub_nc_u16 v122, v106, v68
	v_mul_u32_u24_sdwa v68, v63, v67 dst_sel:DWORD dst_unused:UNUSED_PAD src0_sel:WORD_0 src1_sel:DWORD
	v_lshrrev_b16 v123, 11, v69
	v_mul_u32_u24_sdwa v69, v62, v67 dst_sel:DWORD dst_unused:UNUSED_PAD src0_sel:WORD_0 src1_sel:DWORD
	v_lshlrev_b32_sdwa v72, v66, v122 dst_sel:DWORD dst_unused:UNUSED_PAD src0_sel:DWORD src1_sel:BYTE_0
	v_lshrrev_b32_e32 v124, 19, v68
	v_mul_lo_u16 v73, v123, 12
	v_lshrrev_b32_e32 v125, 19, v69
	global_load_dwordx4 v[68:71], v72, s[12:13] offset:160
	v_mul_lo_u16 v74, v124, 12
	v_sub_nc_u16 v126, v60, v73
	v_mul_lo_u16 v73, v125, 12
	v_sub_nc_u16 v127, v63, v74
	v_lshlrev_b32_sdwa v63, v66, v126 dst_sel:DWORD dst_unused:UNUSED_PAD src0_sel:DWORD src1_sel:BYTE_0
	v_sub_nc_u16 v128, v62, v73
	s_clause 0x2
	global_load_dwordx4 v[72:75], v72, s[12:13] offset:176
	global_load_dwordx4 v[76:79], v63, s[12:13] offset:160
	;; [unrolled: 1-line block ×3, first 2 shown]
	v_lshlrev_b32_sdwa v62, v66, v127 dst_sel:DWORD dst_unused:UNUSED_PAD src0_sel:DWORD src1_sel:WORD_0
	v_lshlrev_b32_sdwa v63, v66, v128 dst_sel:DWORD dst_unused:UNUSED_PAD src0_sel:DWORD src1_sel:WORD_0
	s_clause 0x3
	global_load_dwordx4 v[84:87], v62, s[12:13] offset:160
	global_load_dwordx4 v[88:91], v62, s[12:13] offset:176
	;; [unrolled: 1-line block ×4, first 2 shown]
	s_waitcnt vmcnt(0) lgkmcnt(0)
	s_barrier
	buffer_gl0_inv
	v_mul_f64 v[62:63], v[58:59], v[70:71]
	v_mul_f64 v[70:71], v[56:57], v[70:71]
	;; [unrolled: 1-line block ×14, first 2 shown]
	v_fma_f64 v[56:57], v[56:57], v[68:69], v[62:63]
	v_fma_f64 v[58:59], v[58:59], v[68:69], -v[70:71]
	v_mul_f64 v[62:63], v[32:33], v[94:95]
	v_mul_f64 v[68:69], v[28:29], v[98:99]
	v_fma_f64 v[44:45], v[44:45], v[72:73], v[100:101]
	v_fma_f64 v[46:47], v[46:47], v[72:73], -v[74:75]
	v_fma_f64 v[36:37], v[36:37], v[76:77], v[102:103]
	v_fma_f64 v[38:39], v[38:39], v[76:77], -v[78:79]
	;; [unrolled: 2-line block ×5, first 2 shown]
	v_fma_f64 v[32:33], v[32:33], v[92:93], v[117:118]
	v_fma_f64 v[28:29], v[28:29], v[96:97], v[119:120]
	v_lshlrev_b32_sdwa v115, v107, v122 dst_sel:DWORD dst_unused:UNUSED_PAD src0_sel:DWORD src1_sel:BYTE_0
	v_add_f64 v[78:79], v[20:21], v[56:57]
	v_add_f64 v[80:81], v[22:23], v[58:59]
	v_fma_f64 v[34:35], v[34:35], v[92:93], -v[62:63]
	v_fma_f64 v[30:31], v[30:31], v[96:97], -v[68:69]
	v_mov_b32_e32 v68, 0x240
	v_mul_u32_u24_e32 v113, 0x240, v124
	v_mul_u32_u24_e32 v114, 0x240, v125
	v_mul_u32_u24_sdwa v111, v121, v68 dst_sel:DWORD dst_unused:UNUSED_PAD src0_sel:WORD_0 src1_sel:DWORD
	v_add_f64 v[62:63], v[56:57], v[44:45]
	v_mul_u32_u24_sdwa v112, v123, v68 dst_sel:DWORD dst_unused:UNUSED_PAD src0_sel:WORD_0 src1_sel:DWORD
	v_add_f64 v[68:69], v[58:59], v[46:47]
	v_add_f64 v[70:71], v[36:37], v[40:41]
	;; [unrolled: 1-line block ×3, first 2 shown]
	v_add_f64 v[58:59], v[58:59], -v[46:47]
	v_add_f64 v[56:57], v[56:57], -v[44:45]
	v_add_f64 v[74:75], v[48:49], v[52:53]
	v_add_f64 v[76:77], v[50:51], v[54:55]
	;; [unrolled: 1-line block ×6, first 2 shown]
	v_add_f64 v[38:39], v[38:39], -v[42:43]
	v_add_f64 v[96:97], v[18:19], v[34:35]
	v_add_f64 v[86:87], v[34:35], v[30:31]
	v_add_f64 v[98:99], v[36:37], -v[40:41]
	v_add_f64 v[90:91], v[24:25], v[48:49]
	v_add_f64 v[92:93], v[26:27], v[50:51]
	v_add_f64 v[50:51], v[50:51], -v[54:55]
	v_add_f64 v[100:101], v[48:49], -v[52:53]
	;; [unrolled: 1-line block ×3, first 2 shown]
	v_fma_f64 v[62:63], v[62:63], -0.5, v[20:21]
	v_fma_f64 v[68:69], v[68:69], -0.5, v[22:23]
	;; [unrolled: 1-line block ×4, first 2 shown]
	v_add_f64 v[12:13], v[78:79], v[44:45]
	v_add_f64 v[14:15], v[80:81], v[46:47]
	v_fma_f64 v[48:49], v[74:75], -0.5, v[24:25]
	v_fma_f64 v[76:77], v[76:77], -0.5, v[26:27]
	v_add_f64 v[74:75], v[34:35], -v[30:31]
	v_fma_f64 v[82:83], v[82:83], -0.5, v[16:17]
	v_add_f64 v[24:25], v[94:95], v[28:29]
	v_add_f64 v[16:17], v[84:85], v[40:41]
	;; [unrolled: 1-line block ×3, first 2 shown]
	v_fma_f64 v[78:79], v[86:87], -0.5, v[18:19]
	v_add_f64 v[18:19], v[88:89], v[42:43]
	v_add_f64 v[20:21], v[90:91], v[52:53]
	;; [unrolled: 1-line block ×3, first 2 shown]
	v_fma_f64 v[28:29], v[58:59], s[4:5], v[62:63]
	v_fma_f64 v[32:33], v[58:59], s[6:7], v[62:63]
	;; [unrolled: 1-line block ×14, first 2 shown]
	v_lshlrev_b32_sdwa v62, v107, v126 dst_sel:DWORD dst_unused:UNUSED_PAD src0_sel:DWORD src1_sel:BYTE_0
	v_fma_f64 v[54:55], v[102:103], s[6:7], v[78:79]
	v_fma_f64 v[58:59], v[102:103], s[4:5], v[78:79]
	v_lshlrev_b32_sdwa v63, v107, v127 dst_sel:DWORD dst_unused:UNUSED_PAD src0_sel:DWORD src1_sel:WORD_0
	v_lshlrev_b32_sdwa v68, v107, v128 dst_sel:DWORD dst_unused:UNUSED_PAD src0_sel:DWORD src1_sel:WORD_0
	v_add3_u32 v69, 0, v111, v115
	v_add3_u32 v62, 0, v112, v62
	;; [unrolled: 1-line block ×4, first 2 shown]
	ds_write_b128 v69, v[12:15]
	ds_write_b128 v69, v[28:31] offset:192
	ds_write_b128 v69, v[32:35] offset:384
	ds_write_b128 v62, v[16:19]
	ds_write_b128 v62, v[36:39] offset:192
	ds_write_b128 v62, v[40:43] offset:384
	;; [unrolled: 3-line block ×4, first 2 shown]
	s_and_saveexec_b32 s1, s0
	s_cbranch_execz .LBB0_27
; %bb.26:
	v_mul_u32_u24_sdwa v12, v61, v67 dst_sel:DWORD dst_unused:UNUSED_PAD src0_sel:WORD_0 src1_sel:DWORD
	v_lshrrev_b32_e32 v24, 19, v12
	v_mul_lo_u16 v12, v24, 12
	v_sub_nc_u16 v25, v61, v12
	v_lshlrev_b32_sdwa v16, v66, v25 dst_sel:DWORD dst_unused:UNUSED_PAD src0_sel:DWORD src1_sel:WORD_0
	s_clause 0x1
	global_load_dwordx4 v[12:15], v16, s[12:13] offset:160
	global_load_dwordx4 v[16:19], v16, s[12:13] offset:176
	s_waitcnt vmcnt(1)
	v_mul_f64 v[20:21], v[4:5], v[14:15]
	s_waitcnt vmcnt(0)
	v_mul_f64 v[22:23], v[8:9], v[18:19]
	v_mul_f64 v[14:15], v[6:7], v[14:15]
	v_mul_f64 v[18:19], v[10:11], v[18:19]
	v_fma_f64 v[6:7], v[6:7], v[12:13], -v[20:21]
	v_fma_f64 v[10:11], v[10:11], v[16:17], -v[22:23]
	v_fma_f64 v[4:5], v[4:5], v[12:13], v[14:15]
	v_fma_f64 v[8:9], v[8:9], v[16:17], v[18:19]
	v_add_f64 v[18:19], v[2:3], v[6:7]
	v_add_f64 v[12:13], v[6:7], v[10:11]
	v_add_f64 v[20:21], v[6:7], -v[10:11]
	v_add_f64 v[14:15], v[4:5], v[8:9]
	v_add_f64 v[16:17], v[4:5], -v[8:9]
	v_add_f64 v[4:5], v[0:1], v[4:5]
	v_fma_f64 v[12:13], v[12:13], -0.5, v[2:3]
	v_add_f64 v[2:3], v[18:19], v[10:11]
	v_fma_f64 v[14:15], v[14:15], -0.5, v[0:1]
	v_add_f64 v[0:1], v[4:5], v[8:9]
	v_fma_f64 v[10:11], v[16:17], s[6:7], v[12:13]
	v_fma_f64 v[6:7], v[16:17], s[4:5], v[12:13]
	v_fma_f64 v[8:9], v[20:21], s[4:5], v[14:15]
	v_fma_f64 v[4:5], v[20:21], s[6:7], v[14:15]
	v_mul_lo_u16 v12, v24, 36
	v_lshlrev_b32_sdwa v13, v107, v25 dst_sel:DWORD dst_unused:UNUSED_PAD src0_sel:DWORD src1_sel:WORD_0
	v_lshlrev_b32_sdwa v12, v107, v12 dst_sel:DWORD dst_unused:UNUSED_PAD src0_sel:DWORD src1_sel:WORD_0
	v_add3_u32 v12, 0, v13, v12
	ds_write_b128 v12, v[0:3]
	ds_write_b128 v12, v[8:11] offset:192
	ds_write_b128 v12, v[4:7] offset:384
.LBB0_27:
	s_or_b32 exec_lo, exec_lo, s1
	v_mul_lo_u16 v0, v65, 57
	v_mov_b32_e32 v1, 6
	v_mul_lo_u16 v2, v64, 57
	s_waitcnt lgkmcnt(0)
	s_barrier
	v_lshrrev_b16 v113, 11, v0
	buffer_gl0_inv
	v_lshrrev_b16 v114, 11, v2
	v_mov_b32_e32 v117, 0xfc0
	v_mul_u32_u24_e32 v115, 6, v106
	v_mul_lo_u16 v0, v113, 36
	s_mov_b32 s14, 0x37e14327
	v_mul_lo_u16 v2, v114, 36
	v_mul_u32_u24_sdwa v127, v113, v117 dst_sel:DWORD dst_unused:UNUSED_PAD src0_sel:WORD_0 src1_sel:DWORD
	v_lshlrev_b32_e32 v118, 4, v115
	v_sub_nc_u16 v111, v106, v0
	v_mul_u32_u24_sdwa v128, v114, v117 dst_sel:DWORD dst_unused:UNUSED_PAD src0_sel:WORD_0 src1_sel:DWORD
	v_sub_nc_u16 v112, v60, v2
	s_mov_b32 s4, 0x36b3c0b5
	v_add_co_u32 v129, s0, s12, v118
	v_mul_u32_u24_sdwa v0, v111, v1 dst_sel:DWORD dst_unused:UNUSED_PAD src0_sel:BYTE_0 src1_sel:DWORD
	v_mul_u32_u24_sdwa v1, v112, v1 dst_sel:DWORD dst_unused:UNUSED_PAD src0_sel:BYTE_0 src1_sel:DWORD
	s_mov_b32 s20, 0xe976ee23
	s_mov_b32 s15, 0x3fe948f6
	;; [unrolled: 1-line block ×3, first 2 shown]
	v_lshlrev_b32_e32 v0, 4, v0
	v_lshlrev_b32_e32 v1, 4, v1
	s_mov_b32 s21, 0x3fe11646
	s_mov_b32 s6, 0x429ad128
	;; [unrolled: 1-line block ×3, first 2 shown]
	s_clause 0xb
	global_load_dwordx4 v[36:39], v0, s[12:13] offset:544
	global_load_dwordx4 v[32:35], v0, s[12:13] offset:560
	;; [unrolled: 1-line block ×12, first 2 shown]
	ds_read_b128 v[92:95], v110 offset:4032
	ds_read_b128 v[56:59], v110 offset:6048
	;; [unrolled: 1-line block ×8, first 2 shown]
	ds_read_b128 v[4:7], v110
	ds_read_b128 v[0:3], v110 offset:2016
	ds_read_b128 v[96:99], v110 offset:20160
	;; [unrolled: 1-line block ×5, first 2 shown]
	s_mov_b32 s8, 0xaaaaaaaa
	s_mov_b32 s18, 0x5476071b
	;; [unrolled: 1-line block ×12, first 2 shown]
	v_add_co_ci_u32_e64 v130, null, s13, 0, s0
	v_add_co_u32 v119, s0, 0x800, v129
	s_waitcnt vmcnt(0) lgkmcnt(0)
	v_add_co_ci_u32_e64 v120, s0, 0, v130, s0
	s_barrier
	buffer_gl0_inv
	v_mul_f64 v[125:126], v[98:99], v[26:27]
	v_mul_f64 v[26:27], v[96:97], v[26:27]
	;; [unrolled: 1-line block ×12, first 2 shown]
	v_fma_f64 v[92:93], v[92:93], v[36:37], v[115:116]
	v_fma_f64 v[36:37], v[94:95], v[36:37], -v[38:39]
	v_mul_f64 v[38:39], v[58:59], v[14:15]
	v_mul_f64 v[14:15], v[56:57], v[14:15]
	v_mul_f64 v[94:95], v[62:63], v[10:11]
	v_mul_f64 v[10:11], v[60:61], v[10:11]
	v_fma_f64 v[88:89], v[88:89], v[32:33], v[113:114]
	v_fma_f64 v[32:33], v[90:91], v[32:33], -v[34:35]
	v_mul_f64 v[34:35], v[78:79], v[46:47]
	v_mul_f64 v[46:47], v[76:77], v[46:47]
	v_mul_f64 v[90:91], v[74:75], v[54:55]
	v_mul_f64 v[54:55], v[72:73], v[54:55]
	;; [unrolled: 6-line block ×3, first 2 shown]
	v_fma_f64 v[100:101], v[100:101], v[20:21], v[123:124]
	v_fma_f64 v[20:21], v[102:103], v[20:21], -v[22:23]
	v_fma_f64 v[22:23], v[96:97], v[24:25], v[125:126]
	v_fma_f64 v[24:25], v[98:99], v[24:25], -v[26:27]
	;; [unrolled: 2-line block ×5, first 2 shown]
	v_add_co_u32 v80, s0, 0xfa0, v129
	v_fma_f64 v[14:15], v[76:77], v[44:45], v[34:35]
	v_fma_f64 v[34:35], v[78:79], v[44:45], -v[46:47]
	v_fma_f64 v[10:11], v[72:73], v[52:53], v[90:91]
	v_fma_f64 v[44:45], v[74:75], v[52:53], -v[54:55]
	v_add_co_ci_u32_e64 v81, s0, 0, v130, s0
	v_fma_f64 v[30:31], v[64:65], v[48:49], v[30:31]
	v_fma_f64 v[46:47], v[66:67], v[48:49], -v[50:51]
	v_fma_f64 v[48:49], v[68:69], v[40:41], v[86:87]
	v_fma_f64 v[40:41], v[70:71], v[40:41], -v[42:43]
	v_add_f64 v[42:43], v[92:93], v[100:101]
	v_add_f64 v[50:51], v[36:37], v[20:21]
	;; [unrolled: 1-line block ×4, first 2 shown]
	v_add_f64 v[24:25], v[32:33], -v[24:25]
	v_add_f64 v[58:59], v[28:29], v[16:17]
	v_add_f64 v[16:17], v[16:17], -v[28:29]
	v_add_f64 v[20:21], v[36:37], -v[20:21]
	v_add_f64 v[36:37], v[84:85], v[26:27]
	v_add_f64 v[22:23], v[88:89], -v[22:23]
	v_add_f64 v[26:27], v[26:27], -v[84:85]
	;; [unrolled: 1-line block ×3, first 2 shown]
	v_add_f64 v[28:29], v[18:19], v[14:15]
	v_add_f64 v[32:33], v[12:13], v[34:35]
	v_add_f64 v[14:15], v[18:19], -v[14:15]
	v_add_f64 v[12:13], v[12:13], -v[34:35]
	v_add_f64 v[18:19], v[38:39], v[10:11]
	v_add_f64 v[34:35], v[8:9], v[44:45]
	v_add_f64 v[10:11], v[38:39], -v[10:11]
	v_add_f64 v[8:9], v[8:9], -v[44:45]
	;; [unrolled: 4-line block ×4, first 2 shown]
	v_add_f64 v[50:51], v[50:51], -v[58:59]
	v_add_f64 v[54:55], v[58:59], -v[54:55]
	;; [unrolled: 1-line block ×4, first 2 shown]
	v_add_f64 v[64:65], v[26:27], v[22:23]
	v_add_f64 v[66:67], v[16:17], v[24:25]
	v_add_f64 v[68:69], v[26:27], -v[22:23]
	v_add_f64 v[70:71], v[16:17], -v[24:25]
	;; [unrolled: 1-line block ×4, first 2 shown]
	v_add_f64 v[72:73], v[18:19], v[28:29]
	v_add_f64 v[74:75], v[34:35], v[32:33]
	v_add_f64 v[76:77], v[18:19], -v[28:29]
	v_add_f64 v[78:79], v[34:35], -v[32:33]
	;; [unrolled: 1-line block ×6, first 2 shown]
	v_add_f64 v[36:37], v[36:37], v[46:47]
	v_add_f64 v[46:47], v[58:59], v[48:49]
	v_add_f64 v[86:87], v[30:31], -v[10:11]
	v_add_f64 v[88:89], v[40:41], -v[8:9]
	v_add_f64 v[82:83], v[30:31], v[10:11]
	v_add_f64 v[84:85], v[40:41], v[8:9]
	v_add_f64 v[10:11], v[10:11], -v[14:15]
	v_add_f64 v[8:9], v[8:9], -v[12:13]
	v_add_f64 v[26:27], v[56:57], -v[26:27]
	v_add_f64 v[16:17], v[20:21], -v[16:17]
	v_add_f64 v[48:49], v[64:65], v[56:57]
	v_add_f64 v[20:21], v[66:67], v[20:21]
	v_mul_f64 v[42:43], v[42:43], s[14:15]
	v_mul_f64 v[50:51], v[50:51], s[14:15]
	v_add_f64 v[38:39], v[38:39], v[72:73]
	v_add_f64 v[44:45], v[44:45], v[74:75]
	v_mul_f64 v[56:57], v[52:53], s[4:5]
	v_mul_f64 v[58:59], v[54:55], s[4:5]
	;; [unrolled: 1-line block ×6, first 2 shown]
	v_add_f64 v[4:5], v[4:5], v[36:37]
	v_add_f64 v[6:7], v[6:7], v[46:47]
	v_add_f64 v[30:31], v[14:15], -v[30:31]
	v_add_f64 v[40:41], v[12:13], -v[40:41]
	v_mul_f64 v[28:29], v[28:29], s[14:15]
	v_mul_f64 v[32:33], v[32:33], s[14:15]
	;; [unrolled: 1-line block ×6, first 2 shown]
	v_add_f64 v[14:15], v[82:83], v[14:15]
	v_add_f64 v[12:13], v[84:85], v[12:13]
	v_mul_f64 v[82:83], v[18:19], s[4:5]
	v_mul_f64 v[84:85], v[34:35], s[4:5]
	v_add_f64 v[0:1], v[0:1], v[38:39]
	v_add_f64 v[2:3], v[2:3], v[44:45]
	v_fma_f64 v[52:53], v[52:53], s[4:5], v[42:43]
	v_fma_f64 v[54:55], v[54:55], s[4:5], v[50:51]
	v_fma_f64 v[56:57], v[60:61], s[18:19], -v[56:57]
	v_fma_f64 v[58:59], v[62:63], s[18:19], -v[58:59]
	;; [unrolled: 1-line block ×4, first 2 shown]
	v_fma_f64 v[60:61], v[26:27], s[22:23], v[64:65]
	v_fma_f64 v[62:63], v[16:17], s[22:23], v[66:67]
	v_fma_f64 v[36:37], v[36:37], s[8:9], v[4:5]
	v_fma_f64 v[46:47], v[46:47], s[8:9], v[6:7]
	v_fma_f64 v[22:23], v[22:23], s[6:7], -v[64:65]
	v_fma_f64 v[26:27], v[26:27], s[24:25], -v[68:69]
	;; [unrolled: 1-line block ×4, first 2 shown]
	v_fma_f64 v[64:65], v[30:31], s[22:23], v[72:73]
	v_fma_f64 v[66:67], v[40:41], s[22:23], v[74:75]
	;; [unrolled: 1-line block ×4, first 2 shown]
	v_fma_f64 v[30:31], v[30:31], s[24:25], -v[86:87]
	v_fma_f64 v[40:41], v[40:41], s[24:25], -v[88:89]
	v_fma_f64 v[38:39], v[38:39], s[8:9], v[0:1]
	v_fma_f64 v[44:45], v[44:45], s[8:9], v[2:3]
	v_fma_f64 v[28:29], v[76:77], s[16:17], -v[28:29]
	v_fma_f64 v[32:33], v[78:79], s[16:17], -v[32:33]
	;; [unrolled: 1-line block ×6, first 2 shown]
	v_fma_f64 v[60:61], v[48:49], s[26:27], v[60:61]
	v_fma_f64 v[62:63], v[20:21], s[26:27], v[62:63]
	v_add_f64 v[52:53], v[52:53], v[36:37]
	v_add_f64 v[54:55], v[54:55], v[46:47]
	v_fma_f64 v[22:23], v[48:49], s[26:27], v[22:23]
	v_fma_f64 v[26:27], v[48:49], s[26:27], v[26:27]
	;; [unrolled: 1-line block ×3, first 2 shown]
	v_add_f64 v[42:43], v[42:43], v[36:37]
	v_add_f64 v[50:51], v[50:51], v[46:47]
	v_fma_f64 v[24:25], v[20:21], s[26:27], v[24:25]
	v_add_f64 v[20:21], v[56:57], v[36:37]
	v_add_f64 v[36:37], v[58:59], v[46:47]
	v_fma_f64 v[64:65], v[14:15], s[26:27], v[64:65]
	v_fma_f64 v[66:67], v[12:13], s[26:27], v[66:67]
	v_add_f64 v[74:75], v[18:19], v[38:39]
	v_add_f64 v[76:77], v[34:35], v[44:45]
	v_fma_f64 v[58:59], v[14:15], s[26:27], v[30:31]
	;; [unrolled: 4-line block ×3, first 2 shown]
	v_fma_f64 v[56:57], v[12:13], s[26:27], v[8:9]
	v_add_f64 v[68:69], v[68:69], v[38:39]
	v_add_f64 v[70:71], v[70:71], v[44:45]
	;; [unrolled: 1-line block ×3, first 2 shown]
	v_add_f64 v[10:11], v[54:55], -v[60:61]
	v_add_f64 v[28:29], v[52:53], -v[62:63]
	v_add_f64 v[30:31], v[60:61], v[54:55]
	v_lshlrev_b32_sdwa v86, v107, v111 dst_sel:DWORD dst_unused:UNUSED_PAD src0_sel:DWORD src1_sel:BYTE_0
	v_add_f64 v[12:13], v[48:49], v[42:43]
	v_add_f64 v[14:15], v[50:51], -v[26:27]
	v_add_f64 v[26:27], v[26:27], v[50:51]
	v_add_f64 v[16:17], v[20:21], -v[24:25]
	v_add_f64 v[18:19], v[22:23], v[36:37]
	v_add_f64 v[20:21], v[24:25], v[20:21]
	v_add_f64 v[22:23], v[36:37], -v[22:23]
	v_add_f64 v[24:25], v[42:43], -v[48:49]
	v_add_f64 v[32:33], v[66:67], v[74:75]
	v_add_f64 v[34:35], v[76:77], -v[64:65]
	v_add_f64 v[52:53], v[74:75], -v[66:67]
	;; [unrolled: 3-line block ×3, first 2 shown]
	v_add_f64 v[50:51], v[58:59], v[82:83]
	v_add_f64 v[40:41], v[68:69], -v[56:57]
	v_add_f64 v[42:43], v[46:47], v[70:71]
	v_add_f64 v[44:45], v[56:57], v[68:69]
	v_add_f64 v[46:47], v[70:71], -v[46:47]
	v_add_f64 v[54:55], v[64:65], v[76:77]
	v_add_co_u32 v84, s0, 0xfe0, v129
	v_lshlrev_b32_sdwa v87, v107, v112 dst_sel:DWORD dst_unused:UNUSED_PAD src0_sel:DWORD src1_sel:BYTE_0
	v_add3_u32 v58, 0, v127, v86
	v_add_co_ci_u32_e64 v85, s0, 0, v130, s0
	v_add_co_u32 v56, s0, 0x3800, v129
	v_add_co_ci_u32_e64 v57, s0, 0, v130, s0
	v_add3_u32 v59, 0, v128, v87
	ds_write_b128 v58, v[4:7]
	ds_write_b128 v58, v[8:11] offset:576
	ds_write_b128 v58, v[12:15] offset:1152
	;; [unrolled: 1-line block ×6, first 2 shown]
	ds_write_b128 v59, v[0:3]
	ds_write_b128 v59, v[32:35] offset:576
	ds_write_b128 v59, v[36:39] offset:1152
	;; [unrolled: 1-line block ×6, first 2 shown]
	s_waitcnt lgkmcnt(0)
	s_barrier
	buffer_gl0_inv
	s_clause 0x1
	global_load_dwordx4 v[0:3], v[119:120], off offset:1952
	global_load_dwordx4 v[4:7], v[80:81], off offset:16
	v_add_co_u32 v44, s0, 0x3ee0, v129
	s_clause 0x3
	global_load_dwordx4 v[8:11], v[80:81], off offset:32
	global_load_dwordx4 v[12:15], v[119:120], off offset:2016
	;; [unrolled: 1-line block ×4, first 2 shown]
	v_add_co_ci_u32_e64 v45, s0, 0, v130, s0
	v_add_co_u32 v32, s0, 0x3f20, v129
	v_add_co_ci_u32_e64 v33, s0, 0, v130, s0
	s_clause 0x5
	global_load_dwordx4 v[24:27], v[56:57], off offset:1760
	global_load_dwordx4 v[28:31], v[44:45], off offset:16
	;; [unrolled: 1-line block ×6, first 2 shown]
	ds_read_b128 v[48:51], v110 offset:4032
	ds_read_b128 v[52:55], v110 offset:8064
	;; [unrolled: 1-line block ×12, first 2 shown]
	s_waitcnt vmcnt(11) lgkmcnt(11)
	v_mul_f64 v[96:97], v[50:51], v[2:3]
	v_mul_f64 v[2:3], v[48:49], v[2:3]
	s_waitcnt vmcnt(10) lgkmcnt(10)
	v_mul_f64 v[98:99], v[54:55], v[6:7]
	v_mul_f64 v[6:7], v[52:53], v[6:7]
	;; [unrolled: 3-line block ×3, first 2 shown]
	s_waitcnt lgkmcnt(7)
	v_mul_f64 v[111:112], v[66:67], v[14:15]
	v_mul_f64 v[14:15], v[64:65], v[14:15]
	;; [unrolled: 1-line block ×4, first 2 shown]
	s_waitcnt vmcnt(6) lgkmcnt(6)
	v_mul_f64 v[113:114], v[70:71], v[22:23]
	v_mul_f64 v[22:23], v[68:69], v[22:23]
	s_waitcnt vmcnt(5) lgkmcnt(5)
	v_mul_f64 v[115:116], v[74:75], v[26:27]
	v_mul_f64 v[26:27], v[72:73], v[26:27]
	;; [unrolled: 3-line block ×6, first 2 shown]
	v_fma_f64 v[48:49], v[48:49], v[0:1], v[96:97]
	v_fma_f64 v[50:51], v[50:51], v[0:1], -v[2:3]
	v_mul_f64 v[96:97], v[90:91], v[42:43]
	v_mul_f64 v[42:43], v[88:89], v[42:43]
	v_fma_f64 v[52:53], v[52:53], v[4:5], v[98:99]
	v_fma_f64 v[54:55], v[54:55], v[4:5], -v[6:7]
	v_fma_f64 v[60:61], v[60:61], v[16:17], v[102:103]
	v_fma_f64 v[16:17], v[62:63], v[16:17], -v[18:19]
	;; [unrolled: 2-line block ×9, first 2 shown]
	ds_read_b128 v[0:3], v110
	ds_read_b128 v[4:7], v110 offset:2016
	s_waitcnt lgkmcnt(0)
	v_fma_f64 v[38:39], v[88:89], v[40:41], v[96:97]
	v_fma_f64 v[40:41], v[90:91], v[40:41], -v[42:43]
	v_fma_f64 v[42:43], v[92:93], v[44:45], v[123:124]
	v_fma_f64 v[44:45], v[94:95], v[44:45], -v[46:47]
	v_add_f64 v[46:47], v[48:49], v[60:61]
	v_add_f64 v[56:57], v[50:51], v[16:17]
	;; [unrolled: 1-line block ×4, first 2 shown]
	v_add_f64 v[48:49], v[48:49], -v[60:61]
	v_add_f64 v[16:17], v[50:51], -v[16:17]
	v_add_f64 v[50:51], v[14:15], v[10:11]
	v_add_f64 v[60:61], v[8:9], v[20:21]
	v_add_f64 v[10:11], v[10:11], -v[14:15]
	v_add_f64 v[8:9], v[20:21], -v[8:9]
	v_add_f64 v[14:15], v[22:23], v[26:27]
	v_add_f64 v[20:21], v[24:25], v[32:33]
	;; [unrolled: 4-line block ×3, first 2 shown]
	v_add_f64 v[18:19], v[52:53], -v[18:19]
	v_add_f64 v[12:13], v[54:55], -v[12:13]
	;; [unrolled: 1-line block ×4, first 2 shown]
	v_add_f64 v[34:35], v[38:39], v[42:43]
	v_add_f64 v[36:37], v[40:41], v[44:45]
	v_add_f64 v[38:39], v[42:43], -v[38:39]
	v_add_f64 v[40:41], v[44:45], -v[40:41]
	v_add_f64 v[42:43], v[58:59], v[46:47]
	v_add_f64 v[44:45], v[62:63], v[56:57]
	v_add_f64 v[52:53], v[58:59], -v[46:47]
	v_add_f64 v[54:55], v[62:63], -v[56:57]
	v_add_f64 v[46:47], v[46:47], -v[50:51]
	v_add_f64 v[56:57], v[56:57], -v[60:61]
	v_add_f64 v[58:59], v[50:51], -v[58:59]
	v_add_f64 v[62:63], v[60:61], -v[62:63]
	s_barrier
	buffer_gl0_inv
	v_add_f64 v[72:73], v[26:27], v[14:15]
	v_add_f64 v[74:75], v[32:33], v[20:21]
	;; [unrolled: 1-line block ×4, first 2 shown]
	v_add_f64 v[68:69], v[10:11], -v[18:19]
	v_add_f64 v[70:71], v[8:9], -v[12:13]
	;; [unrolled: 1-line block ×6, first 2 shown]
	v_add_f64 v[42:43], v[50:51], v[42:43]
	v_add_f64 v[44:45], v[60:61], v[44:45]
	v_add_f64 v[14:15], v[14:15], -v[34:35]
	v_add_f64 v[20:21], v[20:21], -v[36:37]
	;; [unrolled: 1-line block ×4, first 2 shown]
	v_add_f64 v[80:81], v[38:39], v[30:31]
	v_add_f64 v[82:83], v[40:41], v[28:29]
	v_add_f64 v[84:85], v[38:39], -v[30:31]
	v_add_f64 v[86:87], v[40:41], -v[28:29]
	;; [unrolled: 1-line block ×4, first 2 shown]
	v_add_f64 v[34:35], v[34:35], v[72:73]
	v_add_f64 v[36:37], v[36:37], v[74:75]
	v_add_f64 v[10:11], v[48:49], -v[10:11]
	v_add_f64 v[8:9], v[16:17], -v[8:9]
	v_add_f64 v[48:49], v[64:65], v[48:49]
	v_add_f64 v[16:17], v[66:67], v[16:17]
	v_mul_f64 v[46:47], v[46:47], s[14:15]
	v_mul_f64 v[50:51], v[56:57], s[14:15]
	;; [unrolled: 1-line block ×6, first 2 shown]
	v_add_f64 v[0:1], v[0:1], v[42:43]
	v_add_f64 v[2:3], v[2:3], v[44:45]
	v_mul_f64 v[68:69], v[18:19], s[6:7]
	v_mul_f64 v[70:71], v[12:13], s[6:7]
	v_add_f64 v[38:39], v[22:23], -v[38:39]
	v_add_f64 v[40:41], v[24:25], -v[40:41]
	v_add_f64 v[22:23], v[80:81], v[22:23]
	v_add_f64 v[24:25], v[82:83], v[24:25]
	v_mul_f64 v[14:15], v[14:15], s[14:15]
	v_mul_f64 v[20:21], v[20:21], s[14:15]
	;; [unrolled: 1-line block ×4, first 2 shown]
	v_add_f64 v[4:5], v[4:5], v[34:35]
	v_add_f64 v[6:7], v[6:7], v[36:37]
	v_mul_f64 v[84:85], v[30:31], s[6:7]
	v_mul_f64 v[86:87], v[28:29], s[6:7]
	;; [unrolled: 1-line block ×4, first 2 shown]
	v_fma_f64 v[58:59], v[58:59], s[4:5], v[46:47]
	v_fma_f64 v[62:63], v[62:63], s[4:5], v[50:51]
	v_fma_f64 v[56:57], v[52:53], s[18:19], -v[56:57]
	v_fma_f64 v[60:61], v[54:55], s[18:19], -v[60:61]
	;; [unrolled: 1-line block ×4, first 2 shown]
	v_fma_f64 v[52:53], v[10:11], s[22:23], v[64:65]
	v_fma_f64 v[54:55], v[8:9], s[22:23], v[66:67]
	;; [unrolled: 1-line block ×4, first 2 shown]
	v_fma_f64 v[18:19], v[18:19], s[6:7], -v[64:65]
	v_fma_f64 v[10:11], v[10:11], s[24:25], -v[68:69]
	;; [unrolled: 1-line block ×4, first 2 shown]
	v_fma_f64 v[26:27], v[26:27], s[4:5], v[14:15]
	v_fma_f64 v[32:33], v[32:33], s[4:5], v[20:21]
	v_fma_f64 v[68:69], v[38:39], s[22:23], v[80:81]
	v_fma_f64 v[70:71], v[40:41], s[22:23], v[82:83]
	v_fma_f64 v[34:35], v[34:35], s[8:9], v[4:5]
	v_fma_f64 v[36:37], v[36:37], s[8:9], v[6:7]
	v_fma_f64 v[38:39], v[38:39], s[24:25], -v[84:85]
	v_fma_f64 v[40:41], v[40:41], s[24:25], -v[86:87]
	;; [unrolled: 1-line block ×8, first 2 shown]
	v_fma_f64 v[52:53], v[48:49], s[26:27], v[52:53]
	v_fma_f64 v[54:55], v[16:17], s[26:27], v[54:55]
	v_add_f64 v[58:59], v[58:59], v[42:43]
	v_add_f64 v[62:63], v[62:63], v[44:45]
	v_fma_f64 v[72:73], v[48:49], s[26:27], v[18:19]
	v_fma_f64 v[48:49], v[48:49], s[26:27], v[10:11]
	;; [unrolled: 1-line block ×3, first 2 shown]
	v_add_f64 v[46:47], v[46:47], v[42:43]
	v_add_f64 v[50:51], v[50:51], v[44:45]
	v_fma_f64 v[74:75], v[16:17], s[26:27], v[12:13]
	v_add_f64 v[42:43], v[56:57], v[42:43]
	v_add_f64 v[44:45], v[60:61], v[44:45]
	v_fma_f64 v[56:57], v[22:23], s[26:27], v[68:69]
	v_fma_f64 v[60:61], v[24:25], s[26:27], v[70:71]
	v_add_f64 v[82:83], v[26:27], v[34:35]
	v_add_f64 v[84:85], v[32:33], v[36:37]
	v_fma_f64 v[78:79], v[22:23], s[26:27], v[38:39]
	v_fma_f64 v[80:81], v[24:25], s[26:27], v[40:41]
	v_add_f64 v[86:87], v[14:15], v[34:35]
	v_add_f64 v[88:89], v[20:21], v[36:37]
	v_fma_f64 v[68:69], v[22:23], s[26:27], v[30:31]
	v_fma_f64 v[70:71], v[24:25], s[26:27], v[28:29]
	v_add_f64 v[64:65], v[64:65], v[34:35]
	v_add_f64 v[66:67], v[66:67], v[36:37]
	;; [unrolled: 1-line block ×3, first 2 shown]
	v_add_f64 v[10:11], v[62:63], -v[52:53]
	v_add_f64 v[28:29], v[58:59], -v[54:55]
	v_add_f64 v[30:31], v[52:53], v[62:63]
	v_add_f64 v[12:13], v[76:77], v[46:47]
	v_add_f64 v[14:15], v[50:51], -v[48:49]
	v_add_f64 v[24:25], v[46:47], -v[76:77]
	;; [unrolled: 1-line block ×3, first 2 shown]
	v_add_f64 v[18:19], v[72:73], v[44:45]
	v_add_f64 v[20:21], v[74:75], v[42:43]
	v_add_f64 v[22:23], v[44:45], -v[72:73]
	v_add_f64 v[26:27], v[48:49], v[50:51]
	v_add_f64 v[32:33], v[60:61], v[82:83]
	v_add_f64 v[34:35], v[84:85], -v[56:57]
	v_add_f64 v[52:53], v[82:83], -v[60:61]
	v_add_f64 v[36:37], v[80:81], v[86:87]
	v_add_f64 v[38:39], v[88:89], -v[78:79]
	v_add_f64 v[48:49], v[86:87], -v[80:81]
	v_add_f64 v[50:51], v[78:79], v[88:89]
	v_add_f64 v[40:41], v[64:65], -v[70:71]
	v_add_f64 v[42:43], v[68:69], v[66:67]
	v_add_f64 v[44:45], v[70:71], v[64:65]
	v_add_f64 v[46:47], v[66:67], -v[68:69]
	v_add_f64 v[54:55], v[56:57], v[84:85]
	ds_write_b128 v110, v[0:3]
	ds_write_b128 v110, v[4:7] offset:2016
	ds_write_b128 v110, v[8:11] offset:4032
	;; [unrolled: 1-line block ×13, first 2 shown]
	s_waitcnt lgkmcnt(0)
	s_barrier
	buffer_gl0_inv
	s_and_saveexec_b32 s0, vcc_lo
	s_cbranch_execz .LBB0_29
; %bb.28:
	v_mul_lo_u32 v2, s3, v108
	v_mul_lo_u32 v3, s2, v109
	v_mad_u64_u32 v[0:1], null, s2, v108, 0
	v_mov_b32_e32 v107, 0
	v_lshl_add_u32 v30, v106, 4, 0
	v_lshlrev_b64 v[12:13], 4, v[104:105]
	v_add_nc_u32_e32 v14, 0x7e, v106
	v_add_nc_u32_e32 v16, 0xfc, v106
	v_mov_b32_e32 v15, v107
	v_add3_u32 v1, v1, v3, v2
	v_lshlrev_b64 v[18:19], 4, v[106:107]
	v_mov_b32_e32 v17, v107
	v_add_nc_u32_e32 v22, 0x17a, v106
	v_mov_b32_e32 v23, v107
	v_lshlrev_b64 v[8:9], 4, v[0:1]
	ds_read_b128 v[0:3], v30
	ds_read_b128 v[4:7], v30 offset:2016
	v_lshlrev_b64 v[16:17], 4, v[16:17]
	v_add_nc_u32_e32 v28, 0x3f0, v106
	v_mov_b32_e32 v29, v107
	v_add_co_u32 v20, vcc_lo, s10, v8
	v_add_co_ci_u32_e32 v21, vcc_lo, s11, v9, vcc_lo
	ds_read_b128 v[8:11], v30 offset:4032
	v_add_co_u32 v31, vcc_lo, v20, v12
	v_add_co_ci_u32_e32 v32, vcc_lo, v21, v13, vcc_lo
	v_lshlrev_b64 v[12:13], 4, v[14:15]
	v_add_co_u32 v18, vcc_lo, v31, v18
	v_add_co_ci_u32_e32 v19, vcc_lo, v32, v19, vcc_lo
	v_add_co_u32 v20, vcc_lo, v31, v12
	v_add_co_ci_u32_e32 v21, vcc_lo, v32, v13, vcc_lo
	ds_read_b128 v[12:15], v30 offset:6048
	s_waitcnt lgkmcnt(3)
	global_store_dwordx4 v[18:19], v[0:3], off
	s_waitcnt lgkmcnt(2)
	global_store_dwordx4 v[20:21], v[4:7], off
	v_lshlrev_b64 v[0:1], 4, v[22:23]
	v_add_co_u32 v2, vcc_lo, v31, v16
	v_add_co_ci_u32_e32 v3, vcc_lo, v32, v17, vcc_lo
	v_add_nc_u32_e32 v4, 0x1f8, v106
	v_add_co_u32 v0, vcc_lo, v31, v0
	v_add_co_ci_u32_e32 v1, vcc_lo, v32, v1, vcc_lo
	v_mov_b32_e32 v5, v107
	s_waitcnt lgkmcnt(1)
	global_store_dwordx4 v[2:3], v[8:11], off
	v_add_nc_u32_e32 v8, 0x276, v106
	v_mov_b32_e32 v9, v107
	v_add_nc_u32_e32 v16, 0x2f4, v106
	v_mov_b32_e32 v17, v107
	s_waitcnt lgkmcnt(0)
	global_store_dwordx4 v[0:1], v[12:15], off
	v_lshlrev_b64 v[12:13], 4, v[4:5]
	ds_read_b128 v[0:3], v30 offset:8064
	ds_read_b128 v[4:7], v30 offset:10080
	v_lshlrev_b64 v[14:15], 4, v[8:9]
	ds_read_b128 v[8:11], v30 offset:12096
	v_add_co_u32 v20, vcc_lo, v31, v12
	v_add_co_ci_u32_e32 v21, vcc_lo, v32, v13, vcc_lo
	v_lshlrev_b64 v[12:13], 4, v[16:17]
	v_add_nc_u32_e32 v16, 0x372, v106
	v_add_co_u32 v22, vcc_lo, v31, v14
	v_add_co_ci_u32_e32 v23, vcc_lo, v32, v15, vcc_lo
	v_lshlrev_b64 v[26:27], 4, v[16:17]
	ds_read_b128 v[16:19], v30 offset:16128
	v_add_co_u32 v24, vcc_lo, v31, v12
	v_add_co_ci_u32_e32 v25, vcc_lo, v32, v13, vcc_lo
	ds_read_b128 v[12:15], v30 offset:14112
	s_waitcnt lgkmcnt(4)
	global_store_dwordx4 v[20:21], v[0:3], off
	s_waitcnt lgkmcnt(3)
	global_store_dwordx4 v[22:23], v[4:7], off
	;; [unrolled: 2-line block ×3, first 2 shown]
	v_lshlrev_b64 v[0:1], 4, v[28:29]
	v_add_co_u32 v2, vcc_lo, v31, v26
	v_add_co_ci_u32_e32 v3, vcc_lo, v32, v27, vcc_lo
	v_add_nc_u32_e32 v4, 0x46e, v106
	v_mov_b32_e32 v5, v107
	v_add_co_u32 v6, vcc_lo, v31, v0
	v_add_co_ci_u32_e32 v7, vcc_lo, v32, v1, vcc_lo
	v_add_nc_u32_e32 v8, 0x4ec, v106
	v_mov_b32_e32 v9, v107
	v_lshlrev_b64 v[4:5], 4, v[4:5]
	s_waitcnt lgkmcnt(1)
	global_store_dwordx4 v[6:7], v[16:19], off
	v_add_nc_u32_e32 v24, 0x5e8, v106
	v_mov_b32_e32 v25, v107
	v_lshlrev_b64 v[6:7], 4, v[8:9]
	s_waitcnt lgkmcnt(0)
	global_store_dwordx4 v[2:3], v[12:15], off
	v_add_co_u32 v20, vcc_lo, v31, v4
	v_add_nc_u32_e32 v12, 0x56a, v106
	v_mov_b32_e32 v13, v107
	v_add_co_ci_u32_e32 v21, vcc_lo, v32, v5, vcc_lo
	v_add_co_u32 v22, vcc_lo, v31, v6
	ds_read_b128 v[0:3], v30 offset:18144
	v_add_co_ci_u32_e32 v23, vcc_lo, v32, v7, vcc_lo
	ds_read_b128 v[4:7], v30 offset:20160
	ds_read_b128 v[8:11], v30 offset:22176
	v_lshlrev_b64 v[26:27], 4, v[12:13]
	ds_read_b128 v[12:15], v30 offset:24192
	ds_read_b128 v[16:19], v30 offset:26208
	v_add_nc_u32_e32 v106, 0x666, v106
	v_lshlrev_b64 v[24:25], 4, v[24:25]
	v_add_co_u32 v26, vcc_lo, v31, v26
	v_lshlrev_b64 v[28:29], 4, v[106:107]
	v_add_co_ci_u32_e32 v27, vcc_lo, v32, v27, vcc_lo
	v_add_co_u32 v24, vcc_lo, v31, v24
	v_add_co_ci_u32_e32 v25, vcc_lo, v32, v25, vcc_lo
	v_add_co_u32 v28, vcc_lo, v31, v28
	v_add_co_ci_u32_e32 v29, vcc_lo, v32, v29, vcc_lo
	s_waitcnt lgkmcnt(4)
	global_store_dwordx4 v[20:21], v[0:3], off
	s_waitcnt lgkmcnt(3)
	global_store_dwordx4 v[22:23], v[4:7], off
	s_waitcnt lgkmcnt(2)
	global_store_dwordx4 v[26:27], v[8:11], off
	s_waitcnt lgkmcnt(1)
	global_store_dwordx4 v[24:25], v[12:15], off
	s_waitcnt lgkmcnt(0)
	global_store_dwordx4 v[28:29], v[16:19], off
.LBB0_29:
	s_endpgm
	.section	.rodata,"a",@progbits
	.p2align	6, 0x0
	.amdhsa_kernel fft_rtc_back_len1764_factors_2_2_3_3_7_7_wgs_126_tpt_126_halfLds_dp_op_CI_CI_unitstride_sbrr_C2R_dirReg
		.amdhsa_group_segment_fixed_size 0
		.amdhsa_private_segment_fixed_size 0
		.amdhsa_kernarg_size 104
		.amdhsa_user_sgpr_count 6
		.amdhsa_user_sgpr_private_segment_buffer 1
		.amdhsa_user_sgpr_dispatch_ptr 0
		.amdhsa_user_sgpr_queue_ptr 0
		.amdhsa_user_sgpr_kernarg_segment_ptr 1
		.amdhsa_user_sgpr_dispatch_id 0
		.amdhsa_user_sgpr_flat_scratch_init 0
		.amdhsa_user_sgpr_private_segment_size 0
		.amdhsa_wavefront_size32 1
		.amdhsa_uses_dynamic_stack 0
		.amdhsa_system_sgpr_private_segment_wavefront_offset 0
		.amdhsa_system_sgpr_workgroup_id_x 1
		.amdhsa_system_sgpr_workgroup_id_y 0
		.amdhsa_system_sgpr_workgroup_id_z 0
		.amdhsa_system_sgpr_workgroup_info 0
		.amdhsa_system_vgpr_workitem_id 0
		.amdhsa_next_free_vgpr 131
		.amdhsa_next_free_sgpr 28
		.amdhsa_reserve_vcc 1
		.amdhsa_reserve_flat_scratch 0
		.amdhsa_float_round_mode_32 0
		.amdhsa_float_round_mode_16_64 0
		.amdhsa_float_denorm_mode_32 3
		.amdhsa_float_denorm_mode_16_64 3
		.amdhsa_dx10_clamp 1
		.amdhsa_ieee_mode 1
		.amdhsa_fp16_overflow 0
		.amdhsa_workgroup_processor_mode 1
		.amdhsa_memory_ordered 1
		.amdhsa_forward_progress 0
		.amdhsa_shared_vgpr_count 0
		.amdhsa_exception_fp_ieee_invalid_op 0
		.amdhsa_exception_fp_denorm_src 0
		.amdhsa_exception_fp_ieee_div_zero 0
		.amdhsa_exception_fp_ieee_overflow 0
		.amdhsa_exception_fp_ieee_underflow 0
		.amdhsa_exception_fp_ieee_inexact 0
		.amdhsa_exception_int_div_zero 0
	.end_amdhsa_kernel
	.text
.Lfunc_end0:
	.size	fft_rtc_back_len1764_factors_2_2_3_3_7_7_wgs_126_tpt_126_halfLds_dp_op_CI_CI_unitstride_sbrr_C2R_dirReg, .Lfunc_end0-fft_rtc_back_len1764_factors_2_2_3_3_7_7_wgs_126_tpt_126_halfLds_dp_op_CI_CI_unitstride_sbrr_C2R_dirReg
                                        ; -- End function
	.section	.AMDGPU.csdata,"",@progbits
; Kernel info:
; codeLenInByte = 13140
; NumSgprs: 30
; NumVgprs: 131
; ScratchSize: 0
; MemoryBound: 0
; FloatMode: 240
; IeeeMode: 1
; LDSByteSize: 0 bytes/workgroup (compile time only)
; SGPRBlocks: 3
; VGPRBlocks: 16
; NumSGPRsForWavesPerEU: 30
; NumVGPRsForWavesPerEU: 131
; Occupancy: 7
; WaveLimiterHint : 1
; COMPUTE_PGM_RSRC2:SCRATCH_EN: 0
; COMPUTE_PGM_RSRC2:USER_SGPR: 6
; COMPUTE_PGM_RSRC2:TRAP_HANDLER: 0
; COMPUTE_PGM_RSRC2:TGID_X_EN: 1
; COMPUTE_PGM_RSRC2:TGID_Y_EN: 0
; COMPUTE_PGM_RSRC2:TGID_Z_EN: 0
; COMPUTE_PGM_RSRC2:TIDIG_COMP_CNT: 0
	.text
	.p2alignl 6, 3214868480
	.fill 48, 4, 3214868480
	.type	__hip_cuid_8987605e9dd11ee8,@object ; @__hip_cuid_8987605e9dd11ee8
	.section	.bss,"aw",@nobits
	.globl	__hip_cuid_8987605e9dd11ee8
__hip_cuid_8987605e9dd11ee8:
	.byte	0                               ; 0x0
	.size	__hip_cuid_8987605e9dd11ee8, 1

	.ident	"AMD clang version 19.0.0git (https://github.com/RadeonOpenCompute/llvm-project roc-6.4.0 25133 c7fe45cf4b819c5991fe208aaa96edf142730f1d)"
	.section	".note.GNU-stack","",@progbits
	.addrsig
	.addrsig_sym __hip_cuid_8987605e9dd11ee8
	.amdgpu_metadata
---
amdhsa.kernels:
  - .args:
      - .actual_access:  read_only
        .address_space:  global
        .offset:         0
        .size:           8
        .value_kind:     global_buffer
      - .offset:         8
        .size:           8
        .value_kind:     by_value
      - .actual_access:  read_only
        .address_space:  global
        .offset:         16
        .size:           8
        .value_kind:     global_buffer
      - .actual_access:  read_only
        .address_space:  global
        .offset:         24
        .size:           8
        .value_kind:     global_buffer
      - .actual_access:  read_only
        .address_space:  global
        .offset:         32
        .size:           8
        .value_kind:     global_buffer
      - .offset:         40
        .size:           8
        .value_kind:     by_value
      - .actual_access:  read_only
        .address_space:  global
        .offset:         48
        .size:           8
        .value_kind:     global_buffer
      - .actual_access:  read_only
        .address_space:  global
        .offset:         56
        .size:           8
        .value_kind:     global_buffer
      - .offset:         64
        .size:           4
        .value_kind:     by_value
      - .actual_access:  read_only
        .address_space:  global
        .offset:         72
        .size:           8
        .value_kind:     global_buffer
      - .actual_access:  read_only
        .address_space:  global
        .offset:         80
        .size:           8
        .value_kind:     global_buffer
      - .actual_access:  read_only
        .address_space:  global
        .offset:         88
        .size:           8
        .value_kind:     global_buffer
      - .actual_access:  write_only
        .address_space:  global
        .offset:         96
        .size:           8
        .value_kind:     global_buffer
    .group_segment_fixed_size: 0
    .kernarg_segment_align: 8
    .kernarg_segment_size: 104
    .language:       OpenCL C
    .language_version:
      - 2
      - 0
    .max_flat_workgroup_size: 126
    .name:           fft_rtc_back_len1764_factors_2_2_3_3_7_7_wgs_126_tpt_126_halfLds_dp_op_CI_CI_unitstride_sbrr_C2R_dirReg
    .private_segment_fixed_size: 0
    .sgpr_count:     30
    .sgpr_spill_count: 0
    .symbol:         fft_rtc_back_len1764_factors_2_2_3_3_7_7_wgs_126_tpt_126_halfLds_dp_op_CI_CI_unitstride_sbrr_C2R_dirReg.kd
    .uniform_work_group_size: 1
    .uses_dynamic_stack: false
    .vgpr_count:     131
    .vgpr_spill_count: 0
    .wavefront_size: 32
    .workgroup_processor_mode: 1
amdhsa.target:   amdgcn-amd-amdhsa--gfx1030
amdhsa.version:
  - 1
  - 2
...

	.end_amdgpu_metadata
